;; amdgpu-corpus repo=ROCm/rocFFT kind=compiled arch=gfx1030 opt=O3
	.text
	.amdgcn_target "amdgcn-amd-amdhsa--gfx1030"
	.amdhsa_code_object_version 6
	.protected	fft_rtc_back_len1600_factors_10_16_10_wgs_200_tpt_100_halfLds_sp_op_CI_CI_unitstride_sbrr_C2R_dirReg ; -- Begin function fft_rtc_back_len1600_factors_10_16_10_wgs_200_tpt_100_halfLds_sp_op_CI_CI_unitstride_sbrr_C2R_dirReg
	.globl	fft_rtc_back_len1600_factors_10_16_10_wgs_200_tpt_100_halfLds_sp_op_CI_CI_unitstride_sbrr_C2R_dirReg
	.p2align	8
	.type	fft_rtc_back_len1600_factors_10_16_10_wgs_200_tpt_100_halfLds_sp_op_CI_CI_unitstride_sbrr_C2R_dirReg,@function
fft_rtc_back_len1600_factors_10_16_10_wgs_200_tpt_100_halfLds_sp_op_CI_CI_unitstride_sbrr_C2R_dirReg: ; @fft_rtc_back_len1600_factors_10_16_10_wgs_200_tpt_100_halfLds_sp_op_CI_CI_unitstride_sbrr_C2R_dirReg
; %bb.0:
	s_clause 0x2
	s_load_dwordx4 s[12:15], s[4:5], 0x0
	s_load_dwordx4 s[8:11], s[4:5], 0x58
	;; [unrolled: 1-line block ×3, first 2 shown]
	v_mul_u32_u24_e32 v1, 0x290, v0
	v_mov_b32_e32 v3, 0
	v_lshrrev_b32_e32 v7, 16, v1
	v_mov_b32_e32 v1, 0
	v_mov_b32_e32 v6, v3
	v_mov_b32_e32 v2, 0
	v_lshl_add_u32 v5, s6, 1, v7
	s_waitcnt lgkmcnt(0)
	v_cmp_lt_u64_e64 s0, s[14:15], 2
	s_and_b32 vcc_lo, exec_lo, s0
	s_cbranch_vccnz .LBB0_8
; %bb.1:
	s_load_dwordx2 s[0:1], s[4:5], 0x10
	v_mov_b32_e32 v1, 0
	v_mov_b32_e32 v2, 0
	s_add_u32 s2, s18, 8
	s_addc_u32 s3, s19, 0
	s_add_u32 s6, s16, 8
	s_addc_u32 s7, s17, 0
	v_mov_b32_e32 v45, v2
	v_mov_b32_e32 v44, v1
	s_mov_b64 s[22:23], 1
	s_waitcnt lgkmcnt(0)
	s_add_u32 s20, s0, 8
	s_addc_u32 s21, s1, 0
.LBB0_2:                                ; =>This Inner Loop Header: Depth=1
	s_load_dwordx2 s[24:25], s[20:21], 0x0
                                        ; implicit-def: $vgpr48_vgpr49
	s_mov_b32 s0, exec_lo
	s_waitcnt lgkmcnt(0)
	v_or_b32_e32 v4, s25, v6
	v_cmpx_ne_u64_e32 0, v[3:4]
	s_xor_b32 s1, exec_lo, s0
	s_cbranch_execz .LBB0_4
; %bb.3:                                ;   in Loop: Header=BB0_2 Depth=1
	v_cvt_f32_u32_e32 v4, s24
	v_cvt_f32_u32_e32 v8, s25
	s_sub_u32 s0, 0, s24
	s_subb_u32 s26, 0, s25
	v_fmac_f32_e32 v4, 0x4f800000, v8
	v_rcp_f32_e32 v4, v4
	v_mul_f32_e32 v4, 0x5f7ffffc, v4
	v_mul_f32_e32 v8, 0x2f800000, v4
	v_trunc_f32_e32 v8, v8
	v_fmac_f32_e32 v4, 0xcf800000, v8
	v_cvt_u32_f32_e32 v8, v8
	v_cvt_u32_f32_e32 v4, v4
	v_mul_lo_u32 v9, s0, v8
	v_mul_hi_u32 v10, s0, v4
	v_mul_lo_u32 v11, s26, v4
	v_add_nc_u32_e32 v9, v10, v9
	v_mul_lo_u32 v10, s0, v4
	v_add_nc_u32_e32 v9, v9, v11
	v_mul_hi_u32 v11, v4, v10
	v_mul_lo_u32 v12, v4, v9
	v_mul_hi_u32 v13, v4, v9
	v_mul_hi_u32 v14, v8, v10
	v_mul_lo_u32 v10, v8, v10
	v_mul_hi_u32 v15, v8, v9
	v_mul_lo_u32 v9, v8, v9
	v_add_co_u32 v11, vcc_lo, v11, v12
	v_add_co_ci_u32_e32 v12, vcc_lo, 0, v13, vcc_lo
	v_add_co_u32 v10, vcc_lo, v11, v10
	v_add_co_ci_u32_e32 v10, vcc_lo, v12, v14, vcc_lo
	v_add_co_ci_u32_e32 v11, vcc_lo, 0, v15, vcc_lo
	v_add_co_u32 v9, vcc_lo, v10, v9
	v_add_co_ci_u32_e32 v10, vcc_lo, 0, v11, vcc_lo
	v_add_co_u32 v4, vcc_lo, v4, v9
	v_add_co_ci_u32_e32 v8, vcc_lo, v8, v10, vcc_lo
	v_mul_hi_u32 v9, s0, v4
	v_mul_lo_u32 v11, s26, v4
	v_mul_lo_u32 v10, s0, v8
	v_add_nc_u32_e32 v9, v9, v10
	v_mul_lo_u32 v10, s0, v4
	v_add_nc_u32_e32 v9, v9, v11
	v_mul_hi_u32 v11, v4, v10
	v_mul_lo_u32 v12, v4, v9
	v_mul_hi_u32 v13, v4, v9
	v_mul_hi_u32 v14, v8, v10
	v_mul_lo_u32 v10, v8, v10
	v_mul_hi_u32 v15, v8, v9
	v_mul_lo_u32 v9, v8, v9
	v_add_co_u32 v11, vcc_lo, v11, v12
	v_add_co_ci_u32_e32 v12, vcc_lo, 0, v13, vcc_lo
	v_add_co_u32 v10, vcc_lo, v11, v10
	v_add_co_ci_u32_e32 v10, vcc_lo, v12, v14, vcc_lo
	v_add_co_ci_u32_e32 v11, vcc_lo, 0, v15, vcc_lo
	v_add_co_u32 v9, vcc_lo, v10, v9
	v_add_co_ci_u32_e32 v10, vcc_lo, 0, v11, vcc_lo
	v_add_co_u32 v4, vcc_lo, v4, v9
	v_add_co_ci_u32_e32 v12, vcc_lo, v8, v10, vcc_lo
	v_mul_hi_u32 v14, v5, v4
	v_mad_u64_u32 v[10:11], null, v6, v4, 0
	v_mad_u64_u32 v[8:9], null, v5, v12, 0
	v_mad_u64_u32 v[12:13], null, v6, v12, 0
	v_add_co_u32 v4, vcc_lo, v14, v8
	v_add_co_ci_u32_e32 v8, vcc_lo, 0, v9, vcc_lo
	v_add_co_u32 v4, vcc_lo, v4, v10
	v_add_co_ci_u32_e32 v4, vcc_lo, v8, v11, vcc_lo
	v_add_co_ci_u32_e32 v8, vcc_lo, 0, v13, vcc_lo
	v_add_co_u32 v4, vcc_lo, v4, v12
	v_add_co_ci_u32_e32 v10, vcc_lo, 0, v8, vcc_lo
	v_mul_lo_u32 v11, s25, v4
	v_mad_u64_u32 v[8:9], null, s24, v4, 0
	v_mul_lo_u32 v12, s24, v10
	v_sub_co_u32 v8, vcc_lo, v5, v8
	v_add3_u32 v9, v9, v12, v11
	v_sub_nc_u32_e32 v11, v6, v9
	v_subrev_co_ci_u32_e64 v11, s0, s25, v11, vcc_lo
	v_add_co_u32 v12, s0, v4, 2
	v_add_co_ci_u32_e64 v13, s0, 0, v10, s0
	v_sub_co_u32 v14, s0, v8, s24
	v_sub_co_ci_u32_e32 v9, vcc_lo, v6, v9, vcc_lo
	v_subrev_co_ci_u32_e64 v11, s0, 0, v11, s0
	v_cmp_le_u32_e32 vcc_lo, s24, v14
	v_cmp_eq_u32_e64 s0, s25, v9
	v_cndmask_b32_e64 v14, 0, -1, vcc_lo
	v_cmp_le_u32_e32 vcc_lo, s25, v11
	v_cndmask_b32_e64 v15, 0, -1, vcc_lo
	v_cmp_le_u32_e32 vcc_lo, s24, v8
	;; [unrolled: 2-line block ×3, first 2 shown]
	v_cndmask_b32_e64 v16, 0, -1, vcc_lo
	v_cmp_eq_u32_e32 vcc_lo, s25, v11
	v_cndmask_b32_e64 v8, v16, v8, s0
	v_cndmask_b32_e32 v11, v15, v14, vcc_lo
	v_add_co_u32 v14, vcc_lo, v4, 1
	v_add_co_ci_u32_e32 v15, vcc_lo, 0, v10, vcc_lo
	v_cmp_ne_u32_e32 vcc_lo, 0, v11
	v_cndmask_b32_e32 v9, v15, v13, vcc_lo
	v_cndmask_b32_e32 v11, v14, v12, vcc_lo
	v_cmp_ne_u32_e32 vcc_lo, 0, v8
	v_cndmask_b32_e32 v49, v10, v9, vcc_lo
	v_cndmask_b32_e32 v48, v4, v11, vcc_lo
.LBB0_4:                                ;   in Loop: Header=BB0_2 Depth=1
	s_andn2_saveexec_b32 s0, s1
	s_cbranch_execz .LBB0_6
; %bb.5:                                ;   in Loop: Header=BB0_2 Depth=1
	v_cvt_f32_u32_e32 v4, s24
	s_sub_i32 s1, 0, s24
	v_mov_b32_e32 v49, v3
	v_rcp_iflag_f32_e32 v4, v4
	v_mul_f32_e32 v4, 0x4f7ffffe, v4
	v_cvt_u32_f32_e32 v4, v4
	v_mul_lo_u32 v8, s1, v4
	v_mul_hi_u32 v8, v4, v8
	v_add_nc_u32_e32 v4, v4, v8
	v_mul_hi_u32 v4, v5, v4
	v_mul_lo_u32 v8, v4, s24
	v_add_nc_u32_e32 v9, 1, v4
	v_sub_nc_u32_e32 v8, v5, v8
	v_subrev_nc_u32_e32 v10, s24, v8
	v_cmp_le_u32_e32 vcc_lo, s24, v8
	v_cndmask_b32_e32 v8, v8, v10, vcc_lo
	v_cndmask_b32_e32 v4, v4, v9, vcc_lo
	v_cmp_le_u32_e32 vcc_lo, s24, v8
	v_add_nc_u32_e32 v9, 1, v4
	v_cndmask_b32_e32 v48, v4, v9, vcc_lo
.LBB0_6:                                ;   in Loop: Header=BB0_2 Depth=1
	s_or_b32 exec_lo, exec_lo, s0
	v_mul_lo_u32 v4, v49, s24
	v_mul_lo_u32 v10, v48, s25
	s_load_dwordx2 s[0:1], s[6:7], 0x0
	v_mad_u64_u32 v[8:9], null, v48, s24, 0
	s_load_dwordx2 s[24:25], s[2:3], 0x0
	s_add_u32 s22, s22, 1
	s_addc_u32 s23, s23, 0
	s_add_u32 s2, s2, 8
	s_addc_u32 s3, s3, 0
	s_add_u32 s6, s6, 8
	v_add3_u32 v4, v9, v10, v4
	v_sub_co_u32 v5, vcc_lo, v5, v8
	s_addc_u32 s7, s7, 0
	s_add_u32 s20, s20, 8
	v_sub_co_ci_u32_e32 v4, vcc_lo, v6, v4, vcc_lo
	s_addc_u32 s21, s21, 0
	s_waitcnt lgkmcnt(0)
	v_mul_lo_u32 v6, s0, v4
	v_mul_lo_u32 v8, s1, v5
	v_mad_u64_u32 v[1:2], null, s0, v5, v[1:2]
	v_mul_lo_u32 v4, s24, v4
	v_mul_lo_u32 v9, s25, v5
	v_mad_u64_u32 v[44:45], null, s24, v5, v[44:45]
	v_cmp_ge_u64_e64 s0, s[22:23], s[14:15]
	v_add3_u32 v2, v8, v2, v6
	v_add3_u32 v45, v9, v45, v4
	s_and_b32 vcc_lo, exec_lo, s0
	s_cbranch_vccnz .LBB0_9
; %bb.7:                                ;   in Loop: Header=BB0_2 Depth=1
	v_mov_b32_e32 v5, v48
	v_mov_b32_e32 v6, v49
	s_branch .LBB0_2
.LBB0_8:
	v_mov_b32_e32 v45, v2
	v_mov_b32_e32 v49, v6
	;; [unrolled: 1-line block ×4, first 2 shown]
.LBB0_9:
	s_load_dwordx2 s[0:1], s[4:5], 0x28
	v_and_b32_e32 v4, 1, v7
	v_mul_hi_u32 v3, 0x28f5c29, v0
	s_lshl_b64 s[4:5], s[14:15], 3
                                        ; implicit-def: $vgpr46
	s_add_u32 s2, s18, s4
	s_addc_u32 s3, s19, s5
	s_waitcnt lgkmcnt(0)
	v_cmp_gt_u64_e32 vcc_lo, s[0:1], v[48:49]
	v_cmp_le_u64_e64 s1, s[0:1], v[48:49]
	v_cmp_eq_u32_e64 s0, 1, v4
	s_and_saveexec_b32 s6, s1
	s_xor_b32 s1, exec_lo, s6
; %bb.10:
	v_mul_u32_u24_e32 v1, 0x64, v3
                                        ; implicit-def: $vgpr3
	v_sub_nc_u32_e32 v46, v0, v1
                                        ; implicit-def: $vgpr0
                                        ; implicit-def: $vgpr1_vgpr2
; %bb.11:
	s_or_saveexec_b32 s1, s1
	s_load_dwordx2 s[2:3], s[2:3], 0x0
	v_cndmask_b32_e64 v55, 0, 0x641, s0
	v_lshlrev_b32_e32 v54, 3, v55
	s_xor_b32 exec_lo, exec_lo, s1
	s_cbranch_execz .LBB0_15
; %bb.12:
	s_add_u32 s4, s16, s4
	s_addc_u32 s5, s17, s5
	v_lshlrev_b64 v[1:2], 3, v[1:2]
	s_load_dwordx2 s[4:5], s[4:5], 0x0
	s_waitcnt lgkmcnt(0)
	v_mul_lo_u32 v6, s5, v48
	v_mul_lo_u32 v7, s4, v49
	v_mad_u64_u32 v[4:5], null, s4, v48, 0
	s_mov_b32 s4, exec_lo
	v_add3_u32 v5, v5, v7, v6
	v_mul_u32_u24_e32 v6, 0x64, v3
	v_lshlrev_b64 v[3:4], 3, v[4:5]
	v_sub_nc_u32_e32 v46, v0, v6
	v_lshlrev_b32_e32 v36, 3, v46
	v_add_co_u32 v0, s0, s8, v3
	v_add_co_ci_u32_e64 v3, s0, s9, v4, s0
	v_add_co_u32 v0, s0, v0, v1
	v_add_co_ci_u32_e64 v1, s0, v3, v2, s0
	v_add_co_u32 v2, s0, v0, v36
	v_add_co_ci_u32_e64 v3, s0, 0, v1, s0
	v_add_co_u32 v4, s0, 0x800, v2
	v_add_co_ci_u32_e64 v5, s0, 0, v3, s0
	v_add_co_u32 v6, s0, 0x1000, v2
	v_add_co_ci_u32_e64 v7, s0, 0, v3, s0
	v_add_co_u32 v8, s0, 0x1800, v2
	v_add_co_ci_u32_e64 v9, s0, 0, v3, s0
	v_add_co_u32 v10, s0, 0x2000, v2
	v_add_co_ci_u32_e64 v11, s0, 0, v3, s0
	v_add_co_u32 v12, s0, 0x2800, v2
	v_add_co_ci_u32_e64 v13, s0, 0, v3, s0
	s_clause 0xf
	global_load_dwordx2 v[14:15], v[2:3], off
	global_load_dwordx2 v[16:17], v[2:3], off offset:800
	global_load_dwordx2 v[18:19], v[2:3], off offset:1600
	;; [unrolled: 1-line block ×15, first 2 shown]
	v_add3_u32 v2, 0, v54, v36
	v_add_nc_u32_e32 v13, 0x400, v2
	v_add_nc_u32_e32 v36, 0x800, v2
	;; [unrolled: 1-line block ×7, first 2 shown]
	s_waitcnt vmcnt(14)
	ds_write2_b64 v2, v[14:15], v[16:17] offset1:100
	s_waitcnt vmcnt(12)
	ds_write2_b64 v13, v[18:19], v[20:21] offset0:72 offset1:172
	s_waitcnt vmcnt(10)
	ds_write2_b64 v36, v[22:23], v[3:4] offset0:144 offset1:244
	;; [unrolled: 2-line block ×7, first 2 shown]
	v_cmpx_eq_u32_e32 0x63, v46
	s_cbranch_execz .LBB0_14
; %bb.13:
	v_add_co_u32 v0, s0, 0x3000, v0
	v_add_co_ci_u32_e64 v1, s0, 0, v1, s0
	v_mov_b32_e32 v46, 0x63
	global_load_dwordx2 v[0:1], v[0:1], off offset:512
	s_waitcnt vmcnt(0)
	ds_write_b64 v2, v[0:1] offset:12008
.LBB0_14:
	s_or_b32 exec_lo, exec_lo, s4
.LBB0_15:
	s_or_b32 exec_lo, exec_lo, s1
	v_lshl_add_u32 v52, v55, 3, 0
	v_lshlrev_b32_e32 v5, 3, v46
	s_waitcnt lgkmcnt(0)
	s_barrier
	buffer_gl0_inv
	s_add_u32 s1, s12, 0x31b0
	v_add_nc_u32_e32 v53, v52, v5
	v_sub_nc_u32_e32 v4, v52, v5
	s_addc_u32 s4, s13, 0
	s_mov_b32 s5, exec_lo
	ds_read_b32 v6, v53
	ds_read_b32 v7, v4 offset:12800
                                        ; implicit-def: $vgpr2_vgpr3
	s_waitcnt lgkmcnt(0)
	v_add_f32_e32 v0, v7, v6
	v_sub_f32_e32 v1, v6, v7
	v_cmpx_ne_u32_e32 0, v46
	s_xor_b32 s5, exec_lo, s5
	s_cbranch_execz .LBB0_17
; %bb.16:
	v_mov_b32_e32 v47, 0
	v_add_f32_e32 v8, v7, v6
	v_sub_f32_e32 v9, v6, v7
	v_lshlrev_b64 v[0:1], 3, v[46:47]
	v_add_co_u32 v0, s0, s1, v0
	v_add_co_ci_u32_e64 v1, s0, s4, v1, s0
	global_load_dwordx2 v[2:3], v[0:1], off
	ds_read_b32 v0, v4 offset:12804
	ds_read_b32 v1, v53 offset:4
	s_waitcnt lgkmcnt(0)
	v_add_f32_e32 v10, v0, v1
	v_sub_f32_e32 v0, v1, v0
	s_waitcnt vmcnt(0)
	v_fma_f32 v6, -v9, v3, v8
	v_fma_f32 v7, v10, v3, -v0
	v_fma_f32 v11, v9, v3, v8
	v_fma_f32 v1, v10, v3, v0
	v_fmac_f32_e32 v6, v2, v10
	v_fmac_f32_e32 v7, v9, v2
	v_fma_f32 v0, -v2, v10, v11
	v_fmac_f32_e32 v1, v9, v2
	v_mov_b32_e32 v2, v46
	v_mov_b32_e32 v3, v47
	ds_write_b64 v4, v[6:7] offset:12800
.LBB0_17:
	s_andn2_saveexec_b32 s0, s5
	s_cbranch_execz .LBB0_19
; %bb.18:
	ds_read_b64 v[2:3], v52 offset:6400
	s_waitcnt lgkmcnt(0)
	v_add_f32_e32 v6, v2, v2
	v_mul_f32_e32 v7, -2.0, v3
	v_mov_b32_e32 v2, 0
	v_mov_b32_e32 v3, 0
	ds_write_b64 v52, v[6:7] offset:6400
.LBB0_19:
	s_or_b32 exec_lo, exec_lo, s0
	v_lshlrev_b64 v[2:3], 3, v[2:3]
	v_add3_u32 v47, 0, v5, v54
	v_add_nc_u32_e32 v57, 0x1400, v47
	v_add_co_u32 v2, s0, s1, v2
	v_add_co_ci_u32_e64 v3, s0, s4, v3, s0
	v_add_nc_u32_e32 v58, 0x2000, v47
	v_add_co_u32 v10, s0, 0x800, v2
	s_clause 0x1
	global_load_dwordx2 v[6:7], v[2:3], off offset:800
	global_load_dwordx2 v[8:9], v[2:3], off offset:1600
	v_add_co_ci_u32_e64 v11, s0, 0, v3, s0
	v_add_co_u32 v2, s0, 0x1000, v2
	s_clause 0x2
	global_load_dwordx2 v[12:13], v[10:11], off offset:352
	global_load_dwordx2 v[14:15], v[10:11], off offset:1152
	;; [unrolled: 1-line block ×3, first 2 shown]
	v_add_co_ci_u32_e64 v3, s0, 0, v3, s0
	s_clause 0x1
	global_load_dwordx2 v[16:17], v[2:3], off offset:704
	global_load_dwordx2 v[2:3], v[2:3], off offset:1504
	ds_write_b64 v53, v[0:1]
	ds_read_b64 v[0:1], v53 offset:800
	ds_read_b64 v[18:19], v4 offset:12000
	v_add_nc_u32_e32 v56, 0x800, v47
	v_add_nc_u32_e32 v59, 0x2800, v47
	;; [unrolled: 1-line block ×3, first 2 shown]
	v_cmp_gt_u32_e64 s0, 60, v46
	s_waitcnt lgkmcnt(0)
	v_add_f32_e32 v20, v0, v18
	v_add_f32_e32 v21, v19, v1
	v_sub_f32_e32 v22, v0, v18
	v_sub_f32_e32 v0, v1, v19
	s_waitcnt vmcnt(6)
	v_fma_f32 v23, v22, v7, v20
	v_fma_f32 v1, v21, v7, v0
	v_fma_f32 v18, -v22, v7, v20
	v_fma_f32 v19, v21, v7, -v0
	v_fma_f32 v0, -v6, v21, v23
	v_fmac_f32_e32 v1, v22, v6
	v_fmac_f32_e32 v18, v6, v21
	v_fmac_f32_e32 v19, v22, v6
	ds_write_b64 v53, v[0:1] offset:800
	ds_write_b64 v4, v[18:19] offset:12000
	ds_read_b64 v[0:1], v53 offset:1600
	ds_read_b64 v[6:7], v4 offset:11200
	s_waitcnt lgkmcnt(0)
	v_add_f32_e32 v18, v0, v6
	v_add_f32_e32 v19, v7, v1
	v_sub_f32_e32 v20, v0, v6
	v_sub_f32_e32 v0, v1, v7
	s_waitcnt vmcnt(5)
	v_fma_f32 v21, v20, v9, v18
	v_fma_f32 v1, v19, v9, v0
	v_fma_f32 v6, -v20, v9, v18
	v_fma_f32 v7, v19, v9, -v0
	v_fma_f32 v0, -v8, v19, v21
	v_fmac_f32_e32 v1, v20, v8
	v_fmac_f32_e32 v6, v8, v19
	v_fmac_f32_e32 v7, v20, v8
	ds_write_b64 v53, v[0:1] offset:1600
	ds_write_b64 v4, v[6:7] offset:11200
	ds_read_b64 v[0:1], v53 offset:2400
	ds_read_b64 v[6:7], v4 offset:10400
	;; [unrolled: 18-line block ×6, first 2 shown]
	s_waitcnt lgkmcnt(0)
	v_add_f32_e32 v8, v0, v6
	v_add_f32_e32 v9, v7, v1
	v_sub_f32_e32 v10, v0, v6
	v_sub_f32_e32 v0, v1, v7
	s_waitcnt vmcnt(0)
	v_fma_f32 v7, v10, v3, v8
	v_fma_f32 v1, v9, v3, v0
	v_fma_f32 v5, -v10, v3, v8
	v_fma_f32 v6, v9, v3, -v0
	v_fma_f32 v0, -v2, v9, v7
	v_fmac_f32_e32 v1, v10, v2
	v_fmac_f32_e32 v5, v2, v9
	;; [unrolled: 1-line block ×3, first 2 shown]
	ds_write_b64 v53, v[0:1] offset:5600
	ds_write_b64 v4, v[5:6] offset:7200
	v_add_nc_u32_e32 v0, 0x1000, v47
	s_waitcnt lgkmcnt(0)
	s_barrier
	buffer_gl0_inv
	s_barrier
	buffer_gl0_inv
	ds_read2_b64 v[16:19], v57 offset0:100 offset1:160
	ds_read2_b64 v[12:15], v58 offset0:36 offset1:96
	;; [unrolled: 1-line block ×4, first 2 shown]
	v_add_nc_u32_e32 v1, 0x2400, v47
	ds_read2_b64 v[32:35], v56 offset0:4 offset1:64
	ds_read2_b64 v[36:39], v0 offset0:68 offset1:128
	ds_read2_b64 v[28:31], v60 offset0:132 offset1:192
	ds_read2_b64 v[24:27], v1 offset0:68 offset1:128
	ds_read_b64 v[0:1], v53
	ds_read2_b64 v[40:43], v47 offset0:100 offset1:160
	ds_read_b64 v[50:51], v47 offset:12320
	s_waitcnt lgkmcnt(0)
	s_barrier
	buffer_gl0_inv
	v_add_f32_e32 v3, v18, v14
	v_sub_f32_e32 v4, v23, v19
	v_sub_f32_e32 v61, v11, v15
	;; [unrolled: 1-line block ×3, first 2 shown]
	v_add_f32_e32 v69, v0, v34
	v_add_f32_e32 v71, v1, v35
	v_sub_f32_e32 v75, v35, v27
	v_add_f32_e32 v81, v35, v27
	v_sub_f32_e32 v35, v39, v35
	v_sub_f32_e32 v82, v31, v27
	;; [unrolled: 1-line block ×15, first 2 shown]
	v_add_f32_e32 v70, v38, v30
	v_add_f32_e32 v72, v42, v22
	;; [unrolled: 1-line block ×3, first 2 shown]
	v_sub_f32_e32 v78, v38, v30
	v_sub_f32_e32 v79, v38, v34
	v_add_f32_e32 v22, v22, v10
	v_add_f32_e32 v93, v4, v61
	v_sub_f32_e32 v4, v17, v21
	v_sub_f32_e32 v61, v13, v9
	v_add_f32_e32 v35, v35, v82
	v_add_f32_e32 v82, v83, v84
	;; [unrolled: 1-line block ×6, first 2 shown]
	v_fma_f32 v92, -0.5, v3, v42
	v_add_f32_e32 v3, v69, v38
	v_add_f32_e32 v38, v71, v39
	;; [unrolled: 1-line block ×3, first 2 shown]
	v_sub_f32_e32 v5, v23, v11
	v_sub_f32_e32 v6, v19, v15
	v_add_f32_e32 v74, v39, v31
	v_sub_f32_e32 v76, v39, v31
	v_sub_f32_e32 v77, v34, v26
	v_add_f32_e32 v34, v34, v26
	v_add_f32_e32 v23, v23, v11
	;; [unrolled: 1-line block ×3, first 2 shown]
	v_fma_f32 v39, -0.5, v22, v42
	v_add_f32_e32 v42, v4, v61
	v_add_f32_e32 v4, v38, v31
	v_sub_f32_e32 v63, v18, v14
	v_sub_f32_e32 v64, v10, v14
	;; [unrolled: 1-line block ×4, first 2 shown]
	v_fma_f32 v94, -0.5, v70, v0
	v_add_f32_e32 v18, v72, v18
	v_fma_f32 v0, -0.5, v34, v0
	v_fma_f32 v34, -0.5, v23, v43
	v_add_f32_e32 v15, v19, v15
	v_add_f32_e32 v19, v4, v27
	v_fmamk_f32 v27, v5, 0xbf737871, v92
	v_fmac_f32_e32 v92, 0x3f737871, v5
	v_add_f32_e32 v64, v62, v64
	v_add_f32_e32 v65, v65, v66
	v_sub_f32_e32 v62, v36, v28
	v_add_f32_e32 v66, v67, v68
	v_sub_f32_e32 v67, v50, v24
	v_add_f32_e32 v89, v16, v12
	v_fma_f32 v2, -0.5, v2, v43
	v_add_f32_e32 v3, v3, v30
	v_add_f32_e32 v14, v18, v14
	v_add_f32_e32 v11, v15, v11
	v_fmamk_f32 v31, v6, 0x3f737871, v39
	v_fmac_f32_e32 v39, 0xbf737871, v6
	v_fmamk_f32 v38, v63, 0xbf737871, v34
	v_fmac_f32_e32 v34, 0x3f737871, v63
	v_fmac_f32_e32 v27, 0xbf167918, v6
	;; [unrolled: 1-line block ×3, first 2 shown]
	v_add_f32_e32 v6, v21, v9
	v_sub_f32_e32 v91, v21, v9
	v_add_f32_e32 v43, v62, v67
	v_add_f32_e32 v18, v3, v26
	;; [unrolled: 1-line block ×4, first 2 shown]
	v_sub_f32_e32 v62, v19, v11
	v_fmac_f32_e32 v31, 0xbf167918, v5
	v_fmac_f32_e32 v39, 0x3f167918, v5
	v_fmamk_f32 v5, v7, 0x3f737871, v2
	v_fmac_f32_e32 v2, 0xbf737871, v7
	v_fmac_f32_e32 v38, 0x3f167918, v7
	;; [unrolled: 1-line block ×3, first 2 shown]
	v_add_f32_e32 v7, v20, v8
	v_fma_f32 v14, -0.5, v89, v40
	v_add_f32_e32 v19, v17, v13
	v_fma_f32 v22, -0.5, v6, v41
	v_sub_f32_e32 v6, v16, v12
	v_add_f32_e32 v3, v18, v10
	v_sub_f32_e32 v61, v18, v10
	v_sub_f32_e32 v18, v17, v13
	v_fma_f32 v10, -0.5, v7, v40
	v_fmamk_f32 v11, v91, 0xbf737871, v14
	v_fmac_f32_e32 v14, 0x3f737871, v91
	v_sub_f32_e32 v7, v20, v8
	v_fma_f32 v19, -0.5, v19, v41
	v_fmamk_f32 v23, v6, 0xbf737871, v22
	v_fmac_f32_e32 v22, 0x3f737871, v6
	v_fmamk_f32 v15, v18, 0x3f737871, v10
	v_fmac_f32_e32 v10, 0xbf737871, v18
	v_fmac_f32_e32 v11, 0xbf167918, v18
	v_fmac_f32_e32 v14, 0x3f167918, v18
	v_fmamk_f32 v18, v7, 0x3f737871, v19
	v_fmac_f32_e32 v19, 0xbf737871, v7
	v_fmac_f32_e32 v23, 0x3f167918, v7
	;; [unrolled: 1-line block ×3, first 2 shown]
	v_add_f32_e32 v7, v36, v50
	v_fmamk_f32 v73, v76, 0x3f737871, v0
	v_fmac_f32_e32 v0, 0xbf737871, v76
	v_fmac_f32_e32 v18, 0x3f167918, v6
	;; [unrolled: 1-line block ×3, first 2 shown]
	v_add_f32_e32 v6, v28, v24
	v_fma_f32 v7, -0.5, v7, v32
	v_sub_f32_e32 v70, v29, v25
	v_sub_f32_e32 v80, v30, v26
	v_fmamk_f32 v71, v75, 0xbf737871, v94
	v_fmac_f32_e32 v94, 0x3f737871, v75
	v_fmac_f32_e32 v73, 0xbf167918, v75
	;; [unrolled: 1-line block ×3, first 2 shown]
	v_fma_f32 v6, -0.5, v6, v32
	v_sub_f32_e32 v26, v37, v51
	v_fmamk_f32 v75, v70, 0x3f737871, v7
	v_fmac_f32_e32 v7, 0xbf737871, v70
	v_add_f32_e32 v68, v79, v80
	v_fma_f32 v80, -0.5, v74, v1
	v_fmac_f32_e32 v5, 0x3f167918, v63
	v_fmac_f32_e32 v2, 0xbf167918, v63
	v_fmamk_f32 v63, v26, 0xbf737871, v6
	v_fmac_f32_e32 v6, 0x3f737871, v26
	v_fmac_f32_e32 v75, 0xbf167918, v26
	;; [unrolled: 1-line block ×3, first 2 shown]
	v_add_f32_e32 v26, v29, v25
	v_sub_f32_e32 v79, v28, v36
	v_fmac_f32_e32 v1, -0.5, v81
	v_sub_f32_e32 v74, v24, v50
	v_fmamk_f32 v72, v77, 0x3f737871, v80
	v_fmac_f32_e32 v80, 0xbf737871, v77
	v_fmac_f32_e32 v63, 0xbf167918, v70
	;; [unrolled: 1-line block ×3, first 2 shown]
	v_fma_f32 v70, -0.5, v26, v33
	v_add_f32_e32 v26, v37, v51
	v_add_f32_e32 v67, v79, v74
	v_fmamk_f32 v74, v78, 0xbf737871, v1
	v_fmac_f32_e32 v1, 0x3f737871, v78
	v_fmac_f32_e32 v71, 0xbf167918, v76
	;; [unrolled: 1-line block ×5, first 2 shown]
	v_fma_f32 v76, -0.5, v26, v33
	v_sub_f32_e32 v26, v36, v50
	v_sub_f32_e32 v78, v28, v24
	;; [unrolled: 1-line block ×6, first 2 shown]
	v_fmac_f32_e32 v74, 0x3f167918, v77
	v_fmac_f32_e32 v1, 0xbf167918, v77
	v_fmamk_f32 v77, v26, 0x3f737871, v70
	v_fmac_f32_e32 v70, 0xbf737871, v26
	v_fmamk_f32 v79, v78, 0xbf737871, v76
	v_fmac_f32_e32 v76, 0x3f737871, v78
	v_add_f32_e32 v69, v81, v83
	v_add_f32_e32 v30, v85, v87
	v_fmac_f32_e32 v77, 0x3f167918, v78
	v_fmac_f32_e32 v70, 0xbf167918, v78
	;; [unrolled: 1-line block ×15, first 2 shown]
	v_mul_u32_u24_e32 v26, 10, v46
	v_fmac_f32_e32 v63, 0x3e9e377a, v43
	v_fmac_f32_e32 v6, 0x3e9e377a, v43
	;; [unrolled: 1-line block ×6, first 2 shown]
	v_mul_f32_e32 v43, 0xbf167918, v5
	v_mul_f32_e32 v81, 0x3f167918, v27
	;; [unrolled: 1-line block ×6, first 2 shown]
	v_fmac_f32_e32 v15, 0xbf167918, v91
	v_fmac_f32_e32 v10, 0x3f167918, v91
	;; [unrolled: 1-line block ×5, first 2 shown]
	v_lshl_add_u32 v26, v26, 3, 0
	v_fmac_f32_e32 v23, 0x3e9e377a, v42
	v_fmac_f32_e32 v22, 0x3e9e377a, v42
	;; [unrolled: 1-line block ×4, first 2 shown]
	v_mul_f32_e32 v84, 0xbf167918, v2
	v_mul_f32_e32 v2, 0xbf4f1bbd, v2
	v_fmac_f32_e32 v43, 0x3f4f1bbd, v27
	v_mul_f32_e32 v27, 0xbf167918, v77
	v_fmac_f32_e32 v81, 0x3f4f1bbd, v5
	;; [unrolled: 2-line block ×3, first 2 shown]
	v_fmac_f32_e32 v83, 0x3f737871, v31
	v_mul_f32_e32 v30, 0xbf737871, v79
	v_mul_f32_e32 v35, 0x3e9e377a, v79
	v_fmac_f32_e32 v65, 0xbe9e377a, v39
	v_fmac_f32_e32 v66, 0x3f737871, v39
	v_mul_f32_e32 v31, 0xbf737871, v76
	v_mul_f32_e32 v39, 0xbe9e377a, v76
	;; [unrolled: 1-line block ×4, first 2 shown]
	v_fmac_f32_e32 v73, 0x3e9e377a, v68
	v_fmac_f32_e32 v0, 0x3e9e377a, v68
	;; [unrolled: 1-line block ×8, first 2 shown]
	v_add_nc_u32_e32 v78, v26, v54
	v_fmac_f32_e32 v2, 0x3f167918, v92
	v_fmac_f32_e32 v27, 0x3f4f1bbd, v63
	;; [unrolled: 1-line block ×9, first 2 shown]
	v_add_f32_e32 v5, v71, v43
	v_add_f32_e32 v6, v72, v81
	v_fmac_f32_e32 v84, 0xbf4f1bbd, v92
	v_add_f32_e32 v64, v1, v66
	v_sub_f32_e32 v66, v1, v66
	v_add_f32_e32 v67, v73, v82
	v_add_f32_e32 v68, v74, v83
	;; [unrolled: 1-line block ×3, first 2 shown]
	v_sub_f32_e32 v65, v0, v65
	v_add_f32_e32 v70, v80, v2
	v_sub_f32_e32 v76, v80, v2
	v_sub_f32_e32 v0, v11, v27
	;; [unrolled: 1-line block ×3, first 2 shown]
	ds_write2_b64 v78, v[3:4], v[5:6] offset1:1
	v_sub_f32_e32 v4, v10, v31
	v_sub_f32_e32 v6, v14, v38
	;; [unrolled: 1-line block ×6, first 2 shown]
	v_add_f32_e32 v69, v94, v84
	v_sub_f32_e32 v71, v71, v43
	v_sub_f32_e32 v72, v72, v81
	;; [unrolled: 1-line block ×5, first 2 shown]
	ds_write2_b64 v78, v[67:68], v[63:64] offset0:2 offset1:3
	ds_write2_b64 v78, v[69:70], v[61:62] offset0:4 offset1:5
	;; [unrolled: 1-line block ×4, first 2 shown]
	s_and_saveexec_b32 s1, s0
	s_cbranch_execz .LBB0_21
; %bb.20:
	v_add_f32_e32 v21, v41, v21
	v_add_f32_e32 v33, v33, v37
	;; [unrolled: 1-line block ×19, first 2 shown]
	v_lshl_add_u32 v14, v55, 3, v26
	v_add_f32_e32 v13, v22, v39
	v_sub_f32_e32 v20, v21, v17
	v_add_f32_e32 v22, v21, v17
	v_add_f32_e32 v12, v10, v31
	;; [unrolled: 1-line block ×4, first 2 shown]
	v_add_nc_u32_e32 v10, 0x1f40, v14
	v_add_f32_e32 v16, v23, v35
	v_add_nc_u32_e32 v11, 0x1f50, v14
	v_add_f32_e32 v9, v19, v42
	v_sub_f32_e32 v19, v24, v25
	v_add_nc_u32_e32 v23, 0x1f60, v14
	v_add_nc_u32_e32 v24, 0x1f70, v14
	;; [unrolled: 1-line block ×3, first 2 shown]
	ds_write2_b64 v10, v[21:22], v[17:18] offset1:1
	ds_write2_b64 v11, v[15:16], v[12:13] offset1:1
	;; [unrolled: 1-line block ×5, first 2 shown]
.LBB0_21:
	s_or_b32 exec_lo, exec_lo, s1
	v_and_b32_e32 v8, 0xff, v46
	v_mov_b32_e32 v9, 15
	s_waitcnt lgkmcnt(0)
	s_barrier
	buffer_gl0_inv
	v_mul_lo_u16 v8, 0xcd, v8
	v_mov_b32_e32 v51, 0xa0
	v_add_nc_u32_e32 v40, 0xc00, v47
	v_add_nc_u32_e32 v83, 0xe00, v47
	;; [unrolled: 1-line block ×3, first 2 shown]
	v_lshrrev_b16 v43, 11, v8
	v_mul_lo_u16 v8, v43, 10
	v_mul_u32_u24_sdwa v43, v43, v51 dst_sel:DWORD dst_unused:UNUSED_PAD src0_sel:WORD_0 src1_sel:DWORD
	v_sub_nc_u16 v50, v46, v8
	v_mul_u32_u24_sdwa v8, v50, v9 dst_sel:DWORD dst_unused:UNUSED_PAD src0_sel:BYTE_0 src1_sel:DWORD
	v_or_b32_sdwa v43, v43, v50 dst_sel:DWORD dst_unused:UNUSED_PAD src0_sel:DWORD src1_sel:BYTE_0
	v_lshlrev_b32_e32 v36, 3, v8
	v_lshlrev_b32_e32 v43, 3, v43
	s_clause 0x7
	global_load_dwordx4 v[8:11], v36, s[12:13]
	global_load_dwordx4 v[12:15], v36, s[12:13] offset:16
	global_load_dwordx4 v[16:19], v36, s[12:13] offset:32
	;; [unrolled: 1-line block ×6, first 2 shown]
	global_load_dwordx2 v[41:42], v36, s[12:13] offset:112
	ds_read2_b64 v[36:39], v47 offset0:100 offset1:200
	ds_read2_b64 v[61:64], v56 offset0:44 offset1:144
	;; [unrolled: 1-line block ×7, first 2 shown]
	ds_read_b64 v[50:51], v53
	ds_read_b64 v[81:82], v47 offset:12000
	v_add3_u32 v43, 0, v43, v54
	v_add_nc_u32_e32 v59, 0x400, v47
	s_waitcnt vmcnt(0) lgkmcnt(0)
	s_barrier
	buffer_gl0_inv
	v_mul_f32_e32 v54, v9, v37
	v_mul_f32_e32 v9, v9, v36
	;; [unrolled: 1-line block ×20, first 2 shown]
	v_fmac_f32_e32 v54, v8, v36
	v_fma_f32 v8, v8, v37, -v9
	v_fmac_f32_e32 v85, v10, v38
	v_fma_f32 v9, v10, v39, -v11
	v_mul_f32_e32 v10, v56, v29
	v_mul_f32_e32 v11, v55, v29
	;; [unrolled: 1-line block ×8, first 2 shown]
	v_fmac_f32_e32 v86, v12, v61
	v_fma_f32 v12, v12, v62, -v13
	v_fmac_f32_e32 v87, v63, v14
	v_fma_f32 v13, v64, v14, -v15
	v_mul_f32_e32 v14, v82, v42
	v_mul_f32_e32 v15, v81, v42
	v_fmac_f32_e32 v88, v77, v16
	v_fma_f32 v16, v78, v16, -v17
	v_fmac_f32_e32 v89, v79, v18
	v_fma_f32 v17, v80, v18, -v19
	v_fmac_f32_e32 v90, v65, v20
	v_fma_f32 v18, v66, v20, -v21
	v_fmac_f32_e32 v91, v67, v22
	v_fma_f32 v19, v68, v22, -v23
	v_fmac_f32_e32 v92, v69, v24
	v_fma_f32 v20, v70, v24, -v25
	v_fmac_f32_e32 v93, v71, v26
	v_fma_f32 v21, v72, v26, -v27
	v_fmac_f32_e32 v10, v55, v28
	v_fma_f32 v11, v56, v28, -v11
	v_fmac_f32_e32 v29, v57, v30
	v_fma_f32 v22, v58, v30, -v31
	v_fmac_f32_e32 v36, v73, v32
	v_fma_f32 v23, v74, v32, -v33
	v_fmac_f32_e32 v37, v75, v34
	v_fma_f32 v24, v76, v34, -v35
	v_fmac_f32_e32 v14, v81, v41
	v_fma_f32 v15, v82, v41, -v15
	v_sub_f32_e32 v25, v50, v91
	v_sub_f32_e32 v19, v51, v19
	;; [unrolled: 1-line block ×16, first 2 shown]
	v_fma_f32 v31, v50, 2.0, -v25
	v_fma_f32 v32, v51, 2.0, -v19
	;; [unrolled: 1-line block ×16, first 2 shown]
	v_add_f32_e32 v22, v25, v22
	v_sub_f32_e32 v26, v19, v26
	v_add_f32_e32 v24, v27, v24
	v_sub_f32_e32 v28, v21, v28
	;; [unrolled: 2-line block ×4, first 2 shown]
	v_sub_f32_e32 v33, v31, v33
	v_sub_f32_e32 v13, v32, v13
	v_fma_f32 v25, v25, 2.0, -v22
	v_fma_f32 v19, v19, 2.0, -v26
	v_sub_f32_e32 v35, v34, v35
	v_sub_f32_e32 v17, v9, v17
	v_fma_f32 v27, v27, 2.0, -v24
	v_fma_f32 v21, v21, 2.0, -v28
	;; [unrolled: 4-line block ×4, first 2 shown]
	v_fmamk_f32 v41, v24, 0x3f3504f3, v22
	v_fmamk_f32 v42, v28, 0x3f3504f3, v26
	v_fmamk_f32 v50, v15, 0x3f3504f3, v23
	v_fmamk_f32 v51, v14, 0x3f3504f3, v30
	v_fma_f32 v31, v31, 2.0, -v33
	v_fma_f32 v32, v32, 2.0, -v13
	;; [unrolled: 1-line block ×8, first 2 shown]
	v_fmamk_f32 v54, v27, 0xbf3504f3, v25
	v_fmamk_f32 v55, v21, 0xbf3504f3, v19
	v_fmac_f32_e32 v41, 0x3f3504f3, v28
	v_fmamk_f32 v28, v10, 0xbf3504f3, v29
	v_fmamk_f32 v57, v11, 0xbf3504f3, v20
	v_add_f32_e32 v56, v33, v17
	v_sub_f32_e32 v35, v13, v35
	v_fmac_f32_e32 v42, 0xbf3504f3, v24
	v_add_f32_e32 v24, v37, v18
	v_sub_f32_e32 v39, v16, v39
	v_fmac_f32_e32 v50, 0x3f3504f3, v14
	v_fmac_f32_e32 v51, 0xbf3504f3, v15
	v_sub_f32_e32 v34, v31, v34
	v_sub_f32_e32 v58, v32, v9
	v_fmac_f32_e32 v54, 0x3f3504f3, v21
	v_fmac_f32_e32 v55, 0xbf3504f3, v27
	v_sub_f32_e32 v17, v36, v38
	v_sub_f32_e32 v18, v8, v12
	v_fmac_f32_e32 v28, 0x3f3504f3, v11
	v_fmac_f32_e32 v57, 0xbf3504f3, v10
	v_fma_f32 v33, v33, 2.0, -v56
	v_fma_f32 v61, v13, 2.0, -v35
	;; [unrolled: 1-line block ×8, first 2 shown]
	v_fmamk_f32 v12, v24, 0x3f3504f3, v56
	v_fmamk_f32 v13, v39, 0x3f3504f3, v35
	;; [unrolled: 1-line block ×4, first 2 shown]
	v_fma_f32 v31, v31, 2.0, -v34
	v_fma_f32 v32, v32, 2.0, -v58
	;; [unrolled: 1-line block ×8, first 2 shown]
	v_fmamk_f32 v8, v26, 0xbf3504f3, v33
	v_fmamk_f32 v9, v27, 0xbf3504f3, v61
	;; [unrolled: 1-line block ×4, first 2 shown]
	v_add_f32_e32 v16, v34, v18
	v_fmamk_f32 v18, v28, 0x3ec3ef15, v54
	v_fmamk_f32 v19, v57, 0x3ec3ef15, v55
	v_fmac_f32_e32 v12, 0x3f3504f3, v39
	v_fmac_f32_e32 v13, 0xbf3504f3, v24
	;; [unrolled: 1-line block ×4, first 2 shown]
	v_sub_f32_e32 v20, v31, v21
	v_sub_f32_e32 v21, v32, v22
	v_fmamk_f32 v22, v36, 0xbf6c835e, v38
	v_fmamk_f32 v23, v65, 0xbf6c835e, v64
	v_fmac_f32_e32 v8, 0x3f3504f3, v27
	v_fmac_f32_e32 v9, 0xbf3504f3, v26
	;; [unrolled: 1-line block ×4, first 2 shown]
	v_sub_f32_e32 v17, v58, v17
	v_fmac_f32_e32 v18, 0x3f6c835e, v57
	v_fmac_f32_e32 v19, 0xbf6c835e, v28
	v_fma_f32 v26, v56, 2.0, -v12
	v_fma_f32 v27, v35, 2.0, -v13
	;; [unrolled: 1-line block ×4, first 2 shown]
	v_fmac_f32_e32 v22, 0x3ec3ef15, v65
	v_fmac_f32_e32 v23, 0xbec3ef15, v36
	v_fma_f32 v24, v34, 2.0, -v16
	v_fma_f32 v30, v31, 2.0, -v20
	;; [unrolled: 1-line block ×10, first 2 shown]
	ds_write2_b64 v43, v[12:13], v[14:15] offset0:140 offset1:150
	ds_write2_b64 v43, v[26:27], v[28:29] offset0:60 offset1:70
	;; [unrolled: 1-line block ×3, first 2 shown]
	v_fma_f32 v26, v38, 2.0, -v22
	v_fma_f32 v27, v64, 2.0, -v23
	ds_write2_b64 v43, v[16:17], v[18:19] offset0:120 offset1:130
	ds_write2_b64 v43, v[32:33], v[34:35] offset0:20 offset1:30
	;; [unrolled: 1-line block ×4, first 2 shown]
	ds_write2_b64 v43, v[30:31], v[26:27] offset1:10
	s_waitcnt lgkmcnt(0)
	s_barrier
	buffer_gl0_inv
	ds_read2_b64 v[32:35], v59 offset0:32 offset1:192
	ds_read2_b64 v[28:31], v83 offset0:32 offset1:192
	;; [unrolled: 1-line block ×4, first 2 shown]
	ds_read_b64 v[36:37], v53
	ds_read_b64 v[38:39], v47 offset:11520
	s_and_saveexec_b32 s1, s0
	s_cbranch_execz .LBB0_23
; %bb.22:
	v_add_nc_u32_e32 v0, 0x200, v47
	v_add_nc_u32_e32 v1, 0x1600, v47
	;; [unrolled: 1-line block ×4, first 2 shown]
	ds_read2_b64 v[16:19], v40 offset0:36 offset1:196
	ds_read2_b64 v[8:11], v0 offset0:36 offset1:196
	;; [unrolled: 1-line block ×5, first 2 shown]
.LBB0_23:
	s_or_b32 exec_lo, exec_lo, s1
	v_mul_u32_u24_e32 v40, 9, v46
	v_add_nc_u32_e32 v65, 0x800, v47
	v_add_nc_u32_e32 v66, 0x1400, v47
	;; [unrolled: 1-line block ×4, first 2 shown]
	v_lshlrev_b32_e32 v50, 3, v40
	s_clause 0x4
	global_load_dwordx4 v[40:43], v50, s[12:13] offset:1200
	global_load_dwordx4 v[53:56], v50, s[12:13] offset:1216
	;; [unrolled: 1-line block ×4, first 2 shown]
	global_load_dwordx2 v[50:51], v50, s[12:13] offset:1264
	s_waitcnt vmcnt(0) lgkmcnt(0)
	s_barrier
	buffer_gl0_inv
	v_mul_f32_e32 v69, v41, v33
	v_mul_f32_e32 v41, v41, v32
	;; [unrolled: 1-line block ×18, first 2 shown]
	v_fmac_f32_e32 v69, v40, v32
	v_fma_f32 v32, v40, v33, -v41
	v_fmac_f32_e32 v70, v42, v34
	v_fma_f32 v33, v42, v35, -v43
	;; [unrolled: 2-line block ×8, first 2 shown]
	v_fma_f32 v22, v39, v50, -v51
	v_fmac_f32_e32 v77, v38, v50
	v_add_f32_e32 v23, v36, v70
	v_add_f32_e32 v26, v72, v74
	v_sub_f32_e32 v31, v70, v72
	v_sub_f32_e32 v34, v76, v74
	v_add_f32_e32 v35, v70, v76
	v_sub_f32_e32 v38, v72, v70
	v_sub_f32_e32 v42, v70, v76
	;; [unrolled: 1-line block ×4, first 2 shown]
	v_add_f32_e32 v64, v32, v28
	v_add_f32_e32 v70, v24, v20
	;; [unrolled: 1-line block ×3, first 2 shown]
	v_sub_f32_e32 v39, v74, v76
	v_add_f32_e32 v40, v37, v33
	v_add_f32_e32 v41, v29, v25
	v_sub_f32_e32 v43, v72, v74
	v_add_f32_e32 v53, v33, v21
	v_add_f32_e32 v55, v69, v71
	;; [unrolled: 1-line block ×3, first 2 shown]
	v_sub_f32_e32 v57, v28, v22
	v_sub_f32_e32 v58, v24, v20
	;; [unrolled: 1-line block ×3, first 2 shown]
	v_add_f32_e32 v61, v71, v77
	v_sub_f32_e32 v62, v73, v71
	v_sub_f32_e32 v71, v71, v77
	;; [unrolled: 1-line block ×4, first 2 shown]
	v_add_f32_e32 v23, v23, v72
	v_fma_f32 v72, -0.5, v26, v36
	v_add_f32_e32 v26, v31, v34
	v_add_f32_e32 v34, v50, v51
	;; [unrolled: 1-line block ×3, first 2 shown]
	v_fma_f32 v50, -0.5, v70, v32
	v_sub_f32_e32 v60, v77, v75
	v_sub_f32_e32 v78, v73, v75
	v_fmac_f32_e32 v32, -0.5, v81
	v_sub_f32_e32 v27, v33, v21
	v_sub_f32_e32 v30, v29, v25
	;; [unrolled: 1-line block ×5, first 2 shown]
	v_fma_f32 v35, -0.5, v35, v36
	v_add_f32_e32 v31, v38, v39
	v_add_f32_e32 v29, v40, v29
	v_fma_f32 v39, -0.5, v41, v37
	v_fmac_f32_e32 v37, -0.5, v53
	v_add_f32_e32 v36, v55, v73
	v_fma_f32 v38, -0.5, v56, v69
	v_add_f32_e32 v20, v24, v20
	v_fmamk_f32 v24, v71, 0x3f737871, v50
	v_add_f32_e32 v40, v59, v60
	v_fmac_f32_e32 v69, -0.5, v61
	v_fmamk_f32 v60, v78, 0xbf737871, v32
	v_fmac_f32_e32 v32, 0x3f737871, v78
	v_fmac_f32_e32 v50, 0xbf737871, v71
	v_sub_f32_e32 v54, v25, v21
	v_add_f32_e32 v51, v79, v80
	v_add_f32_e32 v25, v29, v25
	v_fmamk_f32 v56, v43, 0xbf737871, v37
	v_fmac_f32_e32 v37, 0x3f737871, v43
	v_add_f32_e32 v29, v36, v75
	v_fmamk_f32 v36, v57, 0xbf737871, v38
	v_fmac_f32_e32 v24, 0x3f167918, v78
	v_sub_f32_e32 v63, v75, v77
	v_add_f32_e32 v28, v28, v82
	v_fmamk_f32 v55, v42, 0x3f737871, v39
	v_fmac_f32_e32 v39, 0xbf737871, v42
	v_fmac_f32_e32 v38, 0x3f737871, v57
	v_fmamk_f32 v59, v58, 0x3f737871, v69
	v_fmac_f32_e32 v69, 0xbf737871, v58
	v_fmac_f32_e32 v60, 0x3f167918, v71
	;; [unrolled: 1-line block ×4, first 2 shown]
	v_add_f32_e32 v33, v33, v54
	v_fmamk_f32 v53, v27, 0xbf737871, v72
	v_fmac_f32_e32 v56, 0x3f167918, v42
	v_fmac_f32_e32 v37, 0xbf167918, v42
	;; [unrolled: 1-line block ×4, first 2 shown]
	v_add_f32_e32 v41, v62, v63
	v_fmamk_f32 v54, v30, 0x3f737871, v35
	v_fmac_f32_e32 v35, 0xbf737871, v30
	v_fmac_f32_e32 v55, 0x3f167918, v43
	;; [unrolled: 1-line block ×10, first 2 shown]
	v_add_f32_e32 v23, v23, v74
	v_fmac_f32_e32 v53, 0xbf167918, v30
	v_fmac_f32_e32 v56, 0x3e9e377a, v33
	;; [unrolled: 1-line block ×4, first 2 shown]
	v_mul_f32_e32 v33, 0xbf167918, v24
	v_mul_f32_e32 v42, 0x3f4f1bbd, v24
	v_fmac_f32_e32 v54, 0xbf167918, v27
	v_fmac_f32_e32 v35, 0x3f167918, v27
	;; [unrolled: 1-line block ×7, first 2 shown]
	v_mul_f32_e32 v34, 0xbf737871, v60
	v_mul_f32_e32 v40, 0xbf737871, v32
	;; [unrolled: 1-line block ×4, first 2 shown]
	v_fmac_f32_e32 v72, 0x3f167918, v30
	v_mul_f32_e32 v41, 0xbf167918, v50
	v_mul_f32_e32 v50, 0xbf4f1bbd, v50
	v_add_f32_e32 v23, v23, v76
	v_add_f32_e32 v25, v25, v21
	;; [unrolled: 1-line block ×4, first 2 shown]
	v_fmac_f32_e32 v53, 0x3e9e377a, v26
	v_fmac_f32_e32 v33, 0x3f4f1bbd, v36
	;; [unrolled: 1-line block ×12, first 2 shown]
	v_add_f32_e32 v20, v23, v27
	v_add_f32_e32 v21, v25, v29
	v_sub_f32_e32 v22, v23, v27
	v_sub_f32_e32 v23, v25, v29
	v_add_f32_e32 v24, v53, v33
	v_add_f32_e32 v25, v55, v42
	;; [unrolled: 1-line block ×8, first 2 shown]
	v_sub_f32_e32 v32, v53, v33
	v_sub_f32_e32 v34, v54, v34
	;; [unrolled: 1-line block ×8, first 2 shown]
	ds_write2_b64 v47, v[20:21], v[24:25] offset1:160
	ds_write2_b64 v65, v[26:27], v[28:29] offset0:64 offset1:224
	ds_write2_b64 v66, v[30:31], v[22:23] offset1:160
	ds_write2_b64 v67, v[32:33], v[34:35] offset0:64 offset1:224
	ds_write2_b64 v68, v[36:37], v[38:39] offset1:160
	s_and_saveexec_b32 s1, s0
	s_cbranch_execz .LBB0_25
; %bb.24:
	v_add_nc_u32_e32 v20, 0x64, v46
	v_subrev_nc_u32_e32 v21, 60, v46
	v_add_nc_u32_e32 v38, 0x200, v47
	v_add_nc_u32_e32 v39, 0xc00, v47
	;; [unrolled: 1-line block ×4, first 2 shown]
	v_cndmask_b32_e64 v20, v21, v20, s0
	v_mov_b32_e32 v21, 0
	v_add_nc_u32_e32 v42, 0x2a00, v47
	v_mul_i32_i24_e32 v20, 9, v20
	v_lshlrev_b64 v[20:21], 3, v[20:21]
	v_add_co_u32 v36, s0, s12, v20
	v_add_co_ci_u32_e64 v37, s0, s13, v21, s0
	s_clause 0x4
	global_load_dwordx4 v[20:23], v[36:37], off offset:1200
	global_load_dwordx4 v[24:27], v[36:37], off offset:1216
	;; [unrolled: 1-line block ×4, first 2 shown]
	global_load_dwordx2 v[36:37], v[36:37], off offset:1264
	s_waitcnt vmcnt(4)
	v_mul_f32_e32 v43, v16, v23
	s_waitcnt vmcnt(3)
	v_mul_f32_e32 v47, v12, v27
	;; [unrolled: 2-line block ×4, first 2 shown]
	v_mul_f32_e32 v31, v5, v31
	v_mul_f32_e32 v53, v19, v25
	;; [unrolled: 1-line block ×3, first 2 shown]
	s_waitcnt vmcnt(0)
	v_mul_f32_e32 v55, v7, v37
	v_mul_f32_e32 v56, v3, v29
	;; [unrolled: 1-line block ×11, first 2 shown]
	v_fma_f32 v17, v17, v22, -v43
	v_fma_f32 v13, v13, v26, -v47
	;; [unrolled: 1-line block ×4, first 2 shown]
	v_fmac_f32_e32 v31, v4, v30
	v_fmac_f32_e32 v53, v18, v24
	v_fmac_f32_e32 v54, v14, v32
	v_fmac_f32_e32 v55, v6, v36
	v_fmac_f32_e32 v56, v2, v28
	v_fma_f32 v4, v15, v32, -v33
	v_fma_f32 v3, v3, v28, -v29
	v_fmac_f32_e32 v35, v0, v34
	v_fma_f32 v0, v19, v24, -v25
	v_fma_f32 v2, v7, v36, -v37
	v_fmac_f32_e32 v23, v16, v22
	v_fmac_f32_e32 v57, v10, v20
	v_fma_f32 v6, v11, v20, -v21
	v_sub_f32_e32 v7, v17, v13
	v_sub_f32_e32 v10, v5, v1
	v_add_f32_e32 v11, v13, v1
	v_sub_f32_e32 v15, v53, v54
	v_sub_f32_e32 v16, v55, v56
	v_add_f32_e32 v18, v54, v56
	v_add_f32_e32 v24, v4, v3
	v_add_f32_e32 v43, v0, v2
	v_fmac_f32_e32 v27, v12, v26
	v_sub_f32_e32 v25, v53, v55
	v_add_f32_e32 v34, v53, v55
	v_add_f32_e32 v7, v7, v10
	v_fma_f32 v10, -0.5, v11, v9
	v_add_f32_e32 v11, v15, v16
	v_fma_f32 v15, -0.5, v18, v57
	v_fma_f32 v18, -0.5, v24, v6
	v_sub_f32_e32 v19, v0, v2
	v_sub_f32_e32 v21, v0, v4
	;; [unrolled: 1-line block ×4, first 2 shown]
	v_add_f32_e32 v30, v17, v5
	v_sub_f32_e32 v36, v4, v0
	v_add_f32_e32 v0, v6, v0
	v_fma_f32 v6, -0.5, v43, v6
	v_sub_f32_e32 v12, v23, v31
	v_sub_f32_e32 v28, v13, v17
	;; [unrolled: 1-line block ×5, first 2 shown]
	v_add_f32_e32 v47, v9, v17
	v_sub_f32_e32 v50, v23, v27
	v_add_f32_e32 v58, v27, v35
	v_sub_f32_e32 v60, v27, v23
	v_add_f32_e32 v62, v23, v31
	v_add_f32_e32 v23, v8, v23
	;; [unrolled: 1-line block ×3, first 2 shown]
	v_fma_f32 v24, -0.5, v34, v57
	v_fmamk_f32 v34, v25, 0xbf737871, v18
	v_fmac_f32_e32 v18, 0x3f737871, v25
	v_sub_f32_e32 v14, v27, v35
	v_sub_f32_e32 v20, v4, v3
	;; [unrolled: 1-line block ×3, first 2 shown]
	v_add_f32_e32 v16, v21, v22
	v_fma_f32 v22, -0.5, v30, v9
	v_fmamk_f32 v43, v26, 0x3f737871, v6
	v_fmac_f32_e32 v6, 0xbf737871, v26
	v_sub_f32_e32 v59, v13, v1
	v_add_f32_e32 v21, v28, v29
	v_add_f32_e32 v9, v32, v33
	;; [unrolled: 1-line block ×4, first 2 shown]
	v_fma_f32 v29, -0.5, v58, v8
	v_fma_f32 v32, -0.5, v62, v8
	v_add_f32_e32 v8, v23, v27
	v_add_f32_e32 v23, v53, v54
	v_sub_f32_e32 v17, v17, v5
	v_fmamk_f32 v33, v19, 0x3f737871, v15
	v_fmac_f32_e32 v15, 0xbf737871, v19
	v_fmac_f32_e32 v18, 0x3f167918, v26
	v_sub_f32_e32 v51, v31, v35
	v_add_f32_e32 v28, v36, v37
	v_fmamk_f32 v36, v14, 0x3f737871, v22
	v_fmamk_f32 v37, v20, 0xbf737871, v24
	v_fmac_f32_e32 v22, 0xbf737871, v14
	v_fmac_f32_e32 v24, 0x3f737871, v20
	;; [unrolled: 1-line block ×4, first 2 shown]
	v_add_f32_e32 v1, v13, v1
	v_add_f32_e32 v0, v0, v3
	;; [unrolled: 1-line block ×4, first 2 shown]
	v_fmac_f32_e32 v34, 0xbf167918, v26
	v_fmamk_f32 v27, v12, 0xbf737871, v10
	v_fmac_f32_e32 v10, 0x3f737871, v12
	v_fmamk_f32 v47, v17, 0x3f737871, v29
	v_fmac_f32_e32 v29, 0xbf737871, v17
	v_fmac_f32_e32 v15, 0xbf167918, v20
	;; [unrolled: 1-line block ×3, first 2 shown]
	v_sub_f32_e32 v61, v35, v31
	v_add_f32_e32 v4, v50, v51
	v_fmamk_f32 v50, v59, 0xbf737871, v32
	v_fmac_f32_e32 v32, 0x3f737871, v59
	v_fmac_f32_e32 v36, 0xbf167918, v12
	;; [unrolled: 1-line block ×8, first 2 shown]
	v_add_f32_e32 v5, v1, v5
	v_add_f32_e32 v2, v0, v2
	;; [unrolled: 1-line block ×4, first 2 shown]
	v_fmac_f32_e32 v34, 0x3e9e377a, v16
	v_fmac_f32_e32 v10, 0x3f167918, v14
	;; [unrolled: 1-line block ×4, first 2 shown]
	v_mul_f32_e32 v19, 0x3f4f1bbd, v18
	v_mul_f32_e32 v23, 0xbf167918, v18
	v_add_f32_e32 v30, v60, v61
	v_fmac_f32_e32 v27, 0xbf167918, v14
	v_fmac_f32_e32 v50, 0x3f167918, v17
	;; [unrolled: 1-line block ×7, first 2 shown]
	v_mul_f32_e32 v14, 0xbe9e377a, v43
	v_mul_f32_e32 v16, 0x3e9e377a, v6
	;; [unrolled: 1-line block ×4, first 2 shown]
	v_fmac_f32_e32 v47, 0x3f167918, v59
	v_fmac_f32_e32 v33, 0x3e9e377a, v11
	v_sub_f32_e32 v1, v5, v2
	v_sub_f32_e32 v0, v12, v8
	v_add_f32_e32 v3, v5, v2
	v_add_f32_e32 v2, v12, v8
	v_mul_f32_e32 v12, 0xbf4f1bbd, v34
	v_mul_f32_e32 v20, 0xbf167918, v34
	v_fmac_f32_e32 v10, 0x3e9e377a, v7
	v_fmac_f32_e32 v29, 0x3e9e377a, v4
	;; [unrolled: 1-line block ×14, first 2 shown]
	v_sub_f32_e32 v11, v10, v19
	v_add_f32_e32 v19, v10, v19
	v_add_f32_e32 v18, v29, v23
	v_sub_f32_e32 v7, v36, v14
	v_sub_f32_e32 v9, v22, v16
	v_add_f32_e32 v15, v36, v14
	v_add_f32_e32 v17, v22, v16
	;; [unrolled: 1-line block ×4, first 2 shown]
	v_sub_f32_e32 v5, v27, v12
	v_add_f32_e32 v13, v27, v12
	v_add_f32_e32 v12, v47, v20
	v_sub_f32_e32 v8, v32, v6
	v_sub_f32_e32 v10, v29, v23
	;; [unrolled: 1-line block ×4, first 2 shown]
	ds_write2_b64 v38, v[2:3], v[18:19] offset0:36 offset1:196
	ds_write2_b64 v39, v[16:17], v[14:15] offset0:36 offset1:196
	ds_write2_b64 v40, v[12:13], v[0:1] offset0:36 offset1:196
	ds_write2_b64 v41, v[10:11], v[8:9] offset0:36 offset1:196
	ds_write2_b64 v42, v[6:7], v[4:5] offset0:36 offset1:196
.LBB0_25:
	s_or_b32 exec_lo, exec_lo, s1
	s_waitcnt lgkmcnt(0)
	s_barrier
	buffer_gl0_inv
	s_and_saveexec_b32 s0, vcc_lo
	s_cbranch_execz .LBB0_27
; %bb.26:
	v_mul_lo_u32 v0, s3, v48
	v_mul_lo_u32 v1, s2, v49
	v_mad_u64_u32 v[4:5], null, s2, v48, 0
	v_lshl_add_u32 v20, v46, 3, v52
	v_mov_b32_e32 v47, 0
	v_lshlrev_b64 v[8:9], 3, v[44:45]
	v_add_nc_u32_e32 v10, 0x64, v46
	v_add_nc_u32_e32 v12, 0xc8, v46
	;; [unrolled: 1-line block ×3, first 2 shown]
	v_add3_u32 v5, v5, v1, v0
	ds_read2_b64 v[0:3], v20 offset1:100
	v_mov_b32_e32 v11, v47
	v_lshlrev_b64 v[14:15], 3, v[46:47]
	v_mov_b32_e32 v13, v47
	v_lshlrev_b64 v[4:5], 3, v[4:5]
	v_add_nc_u32_e32 v18, 0x2bc, v46
	v_mov_b32_e32 v19, v47
	v_lshlrev_b64 v[12:13], 3, v[12:13]
	v_add_co_u32 v16, vcc_lo, s10, v4
	v_add_co_ci_u32_e32 v17, vcc_lo, s11, v5, vcc_lo
	ds_read2_b64 v[4:7], v6 offset0:72 offset1:172
	v_add_co_u32 v21, vcc_lo, v16, v8
	v_add_co_ci_u32_e32 v22, vcc_lo, v17, v9, vcc_lo
	v_lshlrev_b64 v[8:9], 3, v[10:11]
	v_add_co_u32 v10, vcc_lo, v21, v14
	v_add_co_ci_u32_e32 v11, vcc_lo, v22, v15, vcc_lo
	v_add_nc_u32_e32 v14, 0x12c, v46
	v_add_co_u32 v8, vcc_lo, v21, v8
	v_add_co_ci_u32_e32 v9, vcc_lo, v22, v9, vcc_lo
	v_add_co_u32 v12, vcc_lo, v21, v12
	v_mov_b32_e32 v15, v47
	v_add_co_ci_u32_e32 v13, vcc_lo, v22, v13, vcc_lo
	s_waitcnt lgkmcnt(1)
	global_store_dwordx2 v[10:11], v[0:1], off
	global_store_dwordx2 v[8:9], v[2:3], off
	s_waitcnt lgkmcnt(0)
	global_store_dwordx2 v[12:13], v[4:5], off
	v_lshlrev_b64 v[0:1], 3, v[14:15]
	v_add_nc_u32_e32 v2, 0x800, v20
	v_add_nc_u32_e32 v8, 0x1f4, v46
	v_mov_b32_e32 v9, v47
	v_add_nc_u32_e32 v10, 0x1000, v20
	v_add_nc_u32_e32 v4, 0x190, v46
	v_mov_b32_e32 v5, v47
	v_add_co_u32 v12, vcc_lo, v21, v0
	v_add_co_ci_u32_e32 v13, vcc_lo, v22, v1, vcc_lo
	ds_read2_b64 v[0:3], v2 offset0:144 offset1:244
	v_lshlrev_b64 v[14:15], 3, v[8:9]
	ds_read2_b64 v[8:11], v10 offset0:88 offset1:188
	v_lshlrev_b64 v[4:5], 3, v[4:5]
	v_add_nc_u32_e32 v16, 0x258, v46
	v_mov_b32_e32 v17, v47
	v_add_co_u32 v4, vcc_lo, v21, v4
	v_lshlrev_b64 v[16:17], 3, v[16:17]
	v_add_co_ci_u32_e32 v5, vcc_lo, v22, v5, vcc_lo
	v_add_co_u32 v14, vcc_lo, v21, v14
	v_add_co_ci_u32_e32 v15, vcc_lo, v22, v15, vcc_lo
	v_add_co_u32 v16, vcc_lo, v21, v16
	v_add_co_ci_u32_e32 v17, vcc_lo, v22, v17, vcc_lo
	global_store_dwordx2 v[12:13], v[6:7], off
	s_waitcnt lgkmcnt(1)
	global_store_dwordx2 v[4:5], v[0:1], off
	global_store_dwordx2 v[14:15], v[2:3], off
	s_waitcnt lgkmcnt(0)
	global_store_dwordx2 v[16:17], v[8:9], off
	v_lshlrev_b64 v[0:1], 3, v[18:19]
	v_add_nc_u32_e32 v2, 0x1800, v20
	v_add_nc_u32_e32 v4, 0x320, v46
	v_mov_b32_e32 v5, v47
	v_add_nc_u32_e32 v6, 0x384, v46
	v_mov_b32_e32 v7, v47
	v_add_nc_u32_e32 v17, 0x1c00, v20
	v_add_co_u32 v8, vcc_lo, v21, v0
	v_add_co_ci_u32_e32 v9, vcc_lo, v22, v1, vcc_lo
	ds_read2_b64 v[0:3], v2 offset0:32 offset1:132
	v_lshlrev_b64 v[12:13], 3, v[4:5]
	v_lshlrev_b64 v[14:15], 3, v[6:7]
	ds_read2_b64 v[4:7], v17 offset0:104 offset1:204
	v_add_nc_u32_e32 v16, 0x3e8, v46
	v_mov_b32_e32 v17, v47
	v_add_nc_u32_e32 v18, 0x44c, v46
	v_add_co_u32 v12, vcc_lo, v21, v12
	v_add_co_ci_u32_e32 v13, vcc_lo, v22, v13, vcc_lo
	v_lshlrev_b64 v[16:17], 3, v[16:17]
	v_add_co_u32 v14, vcc_lo, v21, v14
	v_add_co_ci_u32_e32 v15, vcc_lo, v22, v15, vcc_lo
	v_add_co_u32 v16, vcc_lo, v21, v16
	v_add_co_ci_u32_e32 v17, vcc_lo, v22, v17, vcc_lo
	global_store_dwordx2 v[8:9], v[10:11], off
	s_waitcnt lgkmcnt(1)
	global_store_dwordx2 v[12:13], v[0:1], off
	global_store_dwordx2 v[14:15], v[2:3], off
	s_waitcnt lgkmcnt(0)
	global_store_dwordx2 v[16:17], v[4:5], off
	v_lshlrev_b64 v[0:1], 3, v[18:19]
	v_add_nc_u32_e32 v2, 0x2400, v20
	v_add_nc_u32_e32 v4, 0x4b0, v46
	v_mov_b32_e32 v5, v47
	v_add_nc_u32_e32 v8, 0x514, v46
	v_mov_b32_e32 v9, v47
	v_add_nc_u32_e32 v10, 0x2800, v20
	v_add_co_u32 v12, vcc_lo, v21, v0
	v_add_co_ci_u32_e32 v13, vcc_lo, v22, v1, vcc_lo
	ds_read2_b64 v[0:3], v2 offset0:48 offset1:148
	v_lshlrev_b64 v[4:5], 3, v[4:5]
	v_lshlrev_b64 v[14:15], 3, v[8:9]
	v_add_nc_u32_e32 v16, 0x578, v46
	v_mov_b32_e32 v17, v47
	ds_read2_b64 v[8:11], v10 offset0:120 offset1:220
	v_add_nc_u32_e32 v46, 0x5dc, v46
	v_add_co_u32 v4, vcc_lo, v21, v4
	v_lshlrev_b64 v[16:17], 3, v[16:17]
	v_add_co_ci_u32_e32 v5, vcc_lo, v22, v5, vcc_lo
	v_add_co_u32 v14, vcc_lo, v21, v14
	v_lshlrev_b64 v[18:19], 3, v[46:47]
	v_add_co_ci_u32_e32 v15, vcc_lo, v22, v15, vcc_lo
	v_add_co_u32 v16, vcc_lo, v21, v16
	v_add_co_ci_u32_e32 v17, vcc_lo, v22, v17, vcc_lo
	v_add_co_u32 v18, vcc_lo, v21, v18
	v_add_co_ci_u32_e32 v19, vcc_lo, v22, v19, vcc_lo
	global_store_dwordx2 v[12:13], v[6:7], off
	s_waitcnt lgkmcnt(1)
	global_store_dwordx2 v[4:5], v[0:1], off
	global_store_dwordx2 v[14:15], v[2:3], off
	s_waitcnt lgkmcnt(0)
	global_store_dwordx2 v[16:17], v[8:9], off
	global_store_dwordx2 v[18:19], v[10:11], off
.LBB0_27:
	s_endpgm
	.section	.rodata,"a",@progbits
	.p2align	6, 0x0
	.amdhsa_kernel fft_rtc_back_len1600_factors_10_16_10_wgs_200_tpt_100_halfLds_sp_op_CI_CI_unitstride_sbrr_C2R_dirReg
		.amdhsa_group_segment_fixed_size 0
		.amdhsa_private_segment_fixed_size 0
		.amdhsa_kernarg_size 104
		.amdhsa_user_sgpr_count 6
		.amdhsa_user_sgpr_private_segment_buffer 1
		.amdhsa_user_sgpr_dispatch_ptr 0
		.amdhsa_user_sgpr_queue_ptr 0
		.amdhsa_user_sgpr_kernarg_segment_ptr 1
		.amdhsa_user_sgpr_dispatch_id 0
		.amdhsa_user_sgpr_flat_scratch_init 0
		.amdhsa_user_sgpr_private_segment_size 0
		.amdhsa_wavefront_size32 1
		.amdhsa_uses_dynamic_stack 0
		.amdhsa_system_sgpr_private_segment_wavefront_offset 0
		.amdhsa_system_sgpr_workgroup_id_x 1
		.amdhsa_system_sgpr_workgroup_id_y 0
		.amdhsa_system_sgpr_workgroup_id_z 0
		.amdhsa_system_sgpr_workgroup_info 0
		.amdhsa_system_vgpr_workitem_id 0
		.amdhsa_next_free_vgpr 95
		.amdhsa_next_free_sgpr 27
		.amdhsa_reserve_vcc 1
		.amdhsa_reserve_flat_scratch 0
		.amdhsa_float_round_mode_32 0
		.amdhsa_float_round_mode_16_64 0
		.amdhsa_float_denorm_mode_32 3
		.amdhsa_float_denorm_mode_16_64 3
		.amdhsa_dx10_clamp 1
		.amdhsa_ieee_mode 1
		.amdhsa_fp16_overflow 0
		.amdhsa_workgroup_processor_mode 1
		.amdhsa_memory_ordered 1
		.amdhsa_forward_progress 0
		.amdhsa_shared_vgpr_count 0
		.amdhsa_exception_fp_ieee_invalid_op 0
		.amdhsa_exception_fp_denorm_src 0
		.amdhsa_exception_fp_ieee_div_zero 0
		.amdhsa_exception_fp_ieee_overflow 0
		.amdhsa_exception_fp_ieee_underflow 0
		.amdhsa_exception_fp_ieee_inexact 0
		.amdhsa_exception_int_div_zero 0
	.end_amdhsa_kernel
	.text
.Lfunc_end0:
	.size	fft_rtc_back_len1600_factors_10_16_10_wgs_200_tpt_100_halfLds_sp_op_CI_CI_unitstride_sbrr_C2R_dirReg, .Lfunc_end0-fft_rtc_back_len1600_factors_10_16_10_wgs_200_tpt_100_halfLds_sp_op_CI_CI_unitstride_sbrr_C2R_dirReg
                                        ; -- End function
	.section	.AMDGPU.csdata,"",@progbits
; Kernel info:
; codeLenInByte = 10284
; NumSgprs: 29
; NumVgprs: 95
; ScratchSize: 0
; MemoryBound: 0
; FloatMode: 240
; IeeeMode: 1
; LDSByteSize: 0 bytes/workgroup (compile time only)
; SGPRBlocks: 3
; VGPRBlocks: 11
; NumSGPRsForWavesPerEU: 29
; NumVGPRsForWavesPerEU: 95
; Occupancy: 10
; WaveLimiterHint : 1
; COMPUTE_PGM_RSRC2:SCRATCH_EN: 0
; COMPUTE_PGM_RSRC2:USER_SGPR: 6
; COMPUTE_PGM_RSRC2:TRAP_HANDLER: 0
; COMPUTE_PGM_RSRC2:TGID_X_EN: 1
; COMPUTE_PGM_RSRC2:TGID_Y_EN: 0
; COMPUTE_PGM_RSRC2:TGID_Z_EN: 0
; COMPUTE_PGM_RSRC2:TIDIG_COMP_CNT: 0
	.text
	.p2alignl 6, 3214868480
	.fill 48, 4, 3214868480
	.type	__hip_cuid_19203dbea0f154d7,@object ; @__hip_cuid_19203dbea0f154d7
	.section	.bss,"aw",@nobits
	.globl	__hip_cuid_19203dbea0f154d7
__hip_cuid_19203dbea0f154d7:
	.byte	0                               ; 0x0
	.size	__hip_cuid_19203dbea0f154d7, 1

	.ident	"AMD clang version 19.0.0git (https://github.com/RadeonOpenCompute/llvm-project roc-6.4.0 25133 c7fe45cf4b819c5991fe208aaa96edf142730f1d)"
	.section	".note.GNU-stack","",@progbits
	.addrsig
	.addrsig_sym __hip_cuid_19203dbea0f154d7
	.amdgpu_metadata
---
amdhsa.kernels:
  - .args:
      - .actual_access:  read_only
        .address_space:  global
        .offset:         0
        .size:           8
        .value_kind:     global_buffer
      - .offset:         8
        .size:           8
        .value_kind:     by_value
      - .actual_access:  read_only
        .address_space:  global
        .offset:         16
        .size:           8
        .value_kind:     global_buffer
      - .actual_access:  read_only
        .address_space:  global
        .offset:         24
        .size:           8
        .value_kind:     global_buffer
      - .actual_access:  read_only
        .address_space:  global
        .offset:         32
        .size:           8
        .value_kind:     global_buffer
      - .offset:         40
        .size:           8
        .value_kind:     by_value
      - .actual_access:  read_only
        .address_space:  global
        .offset:         48
        .size:           8
        .value_kind:     global_buffer
      - .actual_access:  read_only
        .address_space:  global
        .offset:         56
        .size:           8
        .value_kind:     global_buffer
      - .offset:         64
        .size:           4
        .value_kind:     by_value
      - .actual_access:  read_only
        .address_space:  global
        .offset:         72
        .size:           8
        .value_kind:     global_buffer
      - .actual_access:  read_only
        .address_space:  global
        .offset:         80
        .size:           8
        .value_kind:     global_buffer
      - .actual_access:  read_only
        .address_space:  global
        .offset:         88
        .size:           8
        .value_kind:     global_buffer
      - .actual_access:  write_only
        .address_space:  global
        .offset:         96
        .size:           8
        .value_kind:     global_buffer
    .group_segment_fixed_size: 0
    .kernarg_segment_align: 8
    .kernarg_segment_size: 104
    .language:       OpenCL C
    .language_version:
      - 2
      - 0
    .max_flat_workgroup_size: 200
    .name:           fft_rtc_back_len1600_factors_10_16_10_wgs_200_tpt_100_halfLds_sp_op_CI_CI_unitstride_sbrr_C2R_dirReg
    .private_segment_fixed_size: 0
    .sgpr_count:     29
    .sgpr_spill_count: 0
    .symbol:         fft_rtc_back_len1600_factors_10_16_10_wgs_200_tpt_100_halfLds_sp_op_CI_CI_unitstride_sbrr_C2R_dirReg.kd
    .uniform_work_group_size: 1
    .uses_dynamic_stack: false
    .vgpr_count:     95
    .vgpr_spill_count: 0
    .wavefront_size: 32
    .workgroup_processor_mode: 1
amdhsa.target:   amdgcn-amd-amdhsa--gfx1030
amdhsa.version:
  - 1
  - 2
...

	.end_amdgpu_metadata
